;; amdgpu-corpus repo=ROCm/rocFFT kind=compiled arch=gfx1030 opt=O3
	.text
	.amdgcn_target "amdgcn-amd-amdhsa--gfx1030"
	.amdhsa_code_object_version 6
	.protected	bluestein_single_back_len1080_dim1_sp_op_CI_CI ; -- Begin function bluestein_single_back_len1080_dim1_sp_op_CI_CI
	.globl	bluestein_single_back_len1080_dim1_sp_op_CI_CI
	.p2align	8
	.type	bluestein_single_back_len1080_dim1_sp_op_CI_CI,@function
bluestein_single_back_len1080_dim1_sp_op_CI_CI: ; @bluestein_single_back_len1080_dim1_sp_op_CI_CI
; %bb.0:
	s_load_dwordx4 s[12:15], s[4:5], 0x28
	v_mul_u32_u24_e32 v1, 0x25f, v0
	v_mov_b32_e32 v73, 0
	s_mov_b32 s0, exec_lo
	v_lshrrev_b32_e32 v2, 16, v1
	v_lshl_add_u32 v72, s6, 1, v2
	s_waitcnt lgkmcnt(0)
	v_cmpx_gt_u64_e64 s[12:13], v[72:73]
	s_cbranch_execz .LBB0_31
; %bb.1:
	s_clause 0x1
	s_load_dwordx4 s[8:11], s[4:5], 0x18
	s_load_dwordx2 s[6:7], s[4:5], 0x0
	v_mul_lo_u16 v1, 0x6c, v2
	v_sub_nc_u16 v21, v0, v1
	v_and_b32_e32 v100, 0xffff, v21
	v_lshlrev_b32_e32 v107, 3, v100
	s_waitcnt lgkmcnt(0)
	s_load_dwordx4 s[0:3], s[8:9], 0x0
	s_clause 0x1
	global_load_dwordx2 v[73:74], v107, s[6:7]
	global_load_dwordx2 v[75:76], v107, s[6:7] offset:1440
	s_waitcnt lgkmcnt(0)
	v_mad_u64_u32 v[0:1], null, s2, v72, 0
	v_mad_u64_u32 v[3:4], null, s0, v100, 0
	v_add_co_u32 v70, s2, s6, v107
	v_add_co_ci_u32_e64 v71, null, s7, 0, s2
	v_mad_u64_u32 v[5:6], null, s3, v72, v[1:2]
	v_add_co_u32 v68, vcc_lo, 0x800, v70
	v_add_co_ci_u32_e32 v69, vcc_lo, 0, v71, vcc_lo
	v_add_co_u32 v66, vcc_lo, 0x1000, v70
	v_mad_u64_u32 v[6:7], null, s1, v100, v[4:5]
	v_mov_b32_e32 v1, v5
	v_add_co_ci_u32_e32 v67, vcc_lo, 0, v71, vcc_lo
	v_add_co_u32 v64, vcc_lo, 0x1800, v70
	v_lshlrev_b64 v[0:1], 3, v[0:1]
	v_mov_b32_e32 v4, v6
	v_add_co_ci_u32_e32 v65, vcc_lo, 0, v71, vcc_lo
	s_mul_i32 s3, s1, 0xb4
	s_mul_hi_u32 s6, s0, 0xb4
	v_lshlrev_b64 v[3:4], 3, v[3:4]
	v_add_co_u32 v0, vcc_lo, s14, v0
	v_add_co_ci_u32_e32 v1, vcc_lo, s15, v1, vcc_lo
	s_mul_i32 s2, s0, 0xb4
	v_add_co_u32 v0, vcc_lo, v0, v3
	s_add_i32 s3, s6, s3
	v_add_co_ci_u32_e32 v1, vcc_lo, v1, v4, vcc_lo
	s_lshl_b64 s[2:3], s[2:3], 3
	s_clause 0x1
	global_load_dwordx2 v[83:84], v[68:69], off offset:832
	global_load_dwordx2 v[81:82], v[66:67], off offset:224
	v_add_co_u32 v3, vcc_lo, v0, s2
	v_add_co_ci_u32_e32 v4, vcc_lo, s3, v1, vcc_lo
	global_load_dwordx2 v[7:8], v[0:1], off
	v_add_co_u32 v5, vcc_lo, v3, s2
	v_add_co_ci_u32_e32 v6, vcc_lo, s3, v4, vcc_lo
	v_and_b32_e32 v2, 1, v2
	v_add_co_u32 v0, vcc_lo, v5, s2
	v_add_co_ci_u32_e32 v1, vcc_lo, s3, v6, vcc_lo
	s_clause 0x1
	global_load_dwordx2 v[3:4], v[3:4], off
	global_load_dwordx2 v[5:6], v[5:6], off
	v_add_co_u32 v9, vcc_lo, v0, s2
	v_add_co_ci_u32_e32 v10, vcc_lo, s3, v1, vcc_lo
	global_load_dwordx2 v[11:12], v[0:1], off
	v_add_co_u32 v0, vcc_lo, v9, s2
	v_add_co_ci_u32_e32 v1, vcc_lo, s3, v10, vcc_lo
	global_load_dwordx2 v[9:10], v[9:10], off
	s_clause 0x1
	global_load_dwordx2 v[77:78], v[66:67], off offset:1664
	global_load_dwordx2 v[79:80], v[64:65], off offset:1056
	global_load_dwordx2 v[13:14], v[0:1], off
	v_cmp_eq_u32_e32 vcc_lo, 1, v2
	s_load_dwordx2 s[6:7], s[4:5], 0x38
	s_load_dwordx4 s[8:11], s[10:11], 0x0
	v_cndmask_b32_e64 v109, 0, 0x438, vcc_lo
	v_cmp_gt_u16_e32 vcc_lo, 0x48, v21
	v_lshlrev_b32_e32 v101, 3, v109
	v_add_nc_u32_e32 v99, v101, v107
	v_add_nc_u32_e32 v2, 0xa00, v99
	s_waitcnt vmcnt(7)
	v_mul_f32_e32 v15, v8, v74
	v_mul_f32_e32 v16, v7, v74
	v_fmac_f32_e32 v15, v7, v73
	v_fma_f32 v16, v8, v73, -v16
	s_waitcnt vmcnt(6)
	v_mul_f32_e32 v7, v4, v76
	v_mul_f32_e32 v8, v3, v76
	s_waitcnt vmcnt(5)
	v_mul_f32_e32 v17, v6, v84
	v_mul_f32_e32 v18, v5, v84
	v_fmac_f32_e32 v7, v3, v75
	s_waitcnt vmcnt(4)
	v_mul_f32_e32 v19, v12, v82
	v_mul_f32_e32 v3, v11, v82
	v_fma_f32 v8, v4, v75, -v8
	v_fmac_f32_e32 v17, v5, v83
	v_fma_f32 v18, v6, v83, -v18
	v_fmac_f32_e32 v19, v11, v81
	s_waitcnt vmcnt(2)
	v_mul_f32_e32 v4, v10, v78
	v_mul_f32_e32 v5, v9, v78
	s_waitcnt vmcnt(0)
	v_mul_f32_e32 v11, v14, v80
	v_mul_f32_e32 v6, v13, v80
	v_fma_f32 v20, v12, v81, -v3
	v_add_nc_u32_e32 v3, 0x1600, v99
	v_fmac_f32_e32 v4, v9, v77
	v_fma_f32 v5, v10, v77, -v5
	v_fmac_f32_e32 v11, v13, v79
	v_fma_f32 v12, v14, v79, -v6
	ds_write2_b64 v99, v[15:16], v[7:8] offset1:180
	ds_write2_b64 v2, v[17:18], v[19:20] offset0:40 offset1:220
	ds_write2_b64 v3, v[4:5], v[11:12] offset0:16 offset1:196
	s_and_saveexec_b32 s12, vcc_lo
	s_cbranch_execz .LBB0_3
; %bb.2:
	v_mad_u64_u32 v[0:1], null, 0xffffe740, s0, v[0:1]
	s_mulk_i32 s1, 0xe740
	global_load_dwordx2 v[4:5], v[70:71], off offset:864
	s_sub_i32 s0, s1, s0
	s_clause 0x2
	global_load_dwordx2 v[6:7], v[68:69], off offset:256
	global_load_dwordx2 v[8:9], v[68:69], off offset:1696
	;; [unrolled: 1-line block ×3, first 2 shown]
	v_add_nc_u32_e32 v28, 0x200, v99
	v_add_nc_u32_e32 v29, 0xe00, v99
	;; [unrolled: 1-line block ×3, first 2 shown]
	v_add_co_u32 v12, s0, v0, s2
	v_add_co_ci_u32_e64 v13, s0, s3, v1, s0
	v_add_co_u32 v14, s0, v12, s2
	global_load_dwordx2 v[0:1], v[0:1], off
	v_add_co_ci_u32_e64 v15, s0, s3, v13, s0
	v_add_co_u32 v16, s0, v14, s2
	global_load_dwordx2 v[12:13], v[12:13], off
	;; [unrolled: 3-line block ×4, first 2 shown]
	v_add_co_ci_u32_e64 v21, s0, s3, v19, s0
	global_load_dwordx2 v[22:23], v[64:65], off offset:480
	global_load_dwordx2 v[18:19], v[18:19], off
	global_load_dwordx2 v[24:25], v[64:65], off offset:1920
	global_load_dwordx2 v[20:21], v[20:21], off
	s_waitcnt vmcnt(7)
	v_mul_f32_e32 v26, v1, v5
	v_mul_f32_e32 v5, v0, v5
	v_fmac_f32_e32 v26, v0, v4
	s_waitcnt vmcnt(6)
	v_mul_f32_e32 v0, v13, v7
	v_fma_f32 v27, v1, v4, -v5
	v_mul_f32_e32 v1, v12, v7
	s_waitcnt vmcnt(5)
	v_mul_f32_e32 v4, v15, v9
	v_mul_f32_e32 v5, v14, v9
	v_fmac_f32_e32 v0, v12, v6
	v_fma_f32 v1, v13, v6, -v1
	s_waitcnt vmcnt(4)
	v_mul_f32_e32 v7, v17, v11
	v_mul_f32_e32 v6, v16, v11
	s_waitcnt vmcnt(2)
	v_mul_f32_e32 v9, v19, v23
	v_mul_f32_e32 v12, v18, v23
	;; [unrolled: 3-line block ×3, first 2 shown]
	v_fmac_f32_e32 v4, v14, v8
	v_fma_f32 v5, v15, v8, -v5
	v_fmac_f32_e32 v7, v16, v10
	v_fma_f32 v8, v17, v10, -v6
	;; [unrolled: 2-line block ×4, first 2 shown]
	v_add_nc_u32_e32 v6, 0x1800, v99
	ds_write2_b64 v28, v[26:27], v[0:1] offset0:44 offset1:224
	ds_write2_b64 v29, v[4:5], v[7:8] offset0:20 offset1:200
	;; [unrolled: 1-line block ×3, first 2 shown]
.LBB0_3:
	s_or_b32 exec_lo, exec_lo, s12
	s_waitcnt lgkmcnt(0)
	s_barrier
	buffer_gl0_inv
	ds_read2_b64 v[12:15], v99 offset1:180
	ds_read2_b64 v[20:23], v2 offset0:40 offset1:220
	ds_read2_b64 v[16:19], v3 offset0:16 offset1:196
                                        ; implicit-def: $vgpr0
                                        ; implicit-def: $vgpr4
                                        ; implicit-def: $vgpr8
	s_and_saveexec_b32 s0, vcc_lo
	s_cbranch_execz .LBB0_5
; %bb.4:
	v_add_nc_u32_e32 v0, 0x200, v99
	v_add_nc_u32_e32 v4, 0xe00, v99
	;; [unrolled: 1-line block ×3, first 2 shown]
	ds_read2_b64 v[0:3], v0 offset0:44 offset1:224
	ds_read2_b64 v[4:7], v4 offset0:20 offset1:200
	;; [unrolled: 1-line block ×3, first 2 shown]
.LBB0_5:
	s_or_b32 exec_lo, exec_lo, s0
	s_waitcnt lgkmcnt(0)
	v_add_f32_e32 v24, v20, v16
	v_add_f32_e32 v25, v12, v20
	v_sub_f32_e32 v26, v21, v17
	s_load_dwordx2 s[2:3], s[4:5], 0x8
	v_mul_lo_u16 v36, v100, 6
	v_fma_f32 v12, -0.5, v24, v12
	v_add_f32_e32 v24, v21, v17
	v_add_f32_e32 v21, v13, v21
	;; [unrolled: 1-line block ×4, first 2 shown]
	v_sub_f32_e32 v16, v20, v16
	v_fma_f32 v13, -0.5, v24, v13
	v_add_f32_e32 v24, v23, v19
	v_sub_f32_e32 v20, v23, v19
	v_add_f32_e32 v23, v15, v23
	v_fma_f32 v25, -0.5, v25, v14
	v_add_f32_e32 v14, v14, v22
	v_fmac_f32_e32 v15, -0.5, v24
	v_sub_f32_e32 v24, v22, v18
	v_add_f32_e32 v17, v21, v17
	v_fmamk_f32 v29, v16, 0xbf5db3d7, v13
	v_fmamk_f32 v21, v20, 0x3f5db3d7, v25
	v_fmac_f32_e32 v25, 0xbf5db3d7, v20
	v_fmamk_f32 v22, v24, 0xbf5db3d7, v15
	v_fmac_f32_e32 v13, 0x3f5db3d7, v16
	v_fmamk_f32 v28, v26, 0x3f5db3d7, v12
	v_add_f32_e32 v14, v14, v18
	v_fmac_f32_e32 v15, 0x3f5db3d7, v24
	v_mul_f32_e32 v16, 0x3f5db3d7, v22
	v_mul_f32_e32 v18, -0.5, v25
	v_mul_f32_e32 v30, 0xbf5db3d7, v21
	v_fmac_f32_e32 v12, 0xbf5db3d7, v26
	v_add_f32_e32 v19, v23, v19
	v_fmac_f32_e32 v16, 0.5, v21
	v_mul_f32_e32 v31, -0.5, v15
	v_fmac_f32_e32 v18, 0x3f5db3d7, v15
	v_add_f32_e32 v20, v27, v14
	v_fmac_f32_e32 v30, 0.5, v22
	v_add_f32_e32 v22, v28, v16
	v_sub_f32_e32 v26, v27, v14
	v_sub_f32_e32 v32, v28, v16
	v_add_f32_e32 v14, v6, v10
	v_add_f32_e32 v16, v7, v11
	v_fmac_f32_e32 v31, 0xbf5db3d7, v25
	v_add_f32_e32 v24, v12, v18
	v_add_f32_e32 v21, v17, v19
	;; [unrolled: 1-line block ×4, first 2 shown]
	v_sub_f32_e32 v34, v12, v18
	v_sub_f32_e32 v27, v17, v19
	v_sub_f32_e32 v33, v29, v30
	v_add_f32_e32 v17, v5, v9
	v_fma_f32 v28, -0.5, v14, v2
	v_sub_f32_e32 v18, v7, v11
	v_fma_f32 v29, -0.5, v16, v3
	v_sub_f32_e32 v16, v6, v10
	v_add_f32_e32 v25, v13, v31
	v_fma_f32 v12, -0.5, v15, v0
	v_sub_f32_e32 v15, v5, v9
	v_sub_f32_e32 v35, v13, v31
	v_fma_f32 v14, -0.5, v17, v1
	v_sub_f32_e32 v17, v4, v8
	v_fmamk_f32 v30, v18, 0x3f5db3d7, v28
	v_fmamk_f32 v31, v16, 0xbf5db3d7, v29
	v_fmac_f32_e32 v28, 0xbf5db3d7, v18
	v_fmac_f32_e32 v29, 0x3f5db3d7, v16
	v_fmamk_f32 v13, v15, 0x3f5db3d7, v12
	v_fmac_f32_e32 v12, 0xbf5db3d7, v15
	v_fmamk_f32 v15, v17, 0xbf5db3d7, v14
	v_fmac_f32_e32 v14, 0x3f5db3d7, v17
	v_mul_f32_e32 v16, 0x3f5db3d7, v31
	v_mul_f32_e32 v17, -0.5, v28
	v_mul_f32_e32 v18, 0xbf5db3d7, v30
	v_mul_f32_e32 v19, -0.5, v29
	v_add_co_u32 v110, null, 0x6c, v100
	v_fmac_f32_e32 v16, 0.5, v30
	v_fmac_f32_e32 v17, 0x3f5db3d7, v29
	v_fmac_f32_e32 v18, 0.5, v31
	v_fmac_f32_e32 v19, 0xbf5db3d7, v28
	v_and_b32_e32 v36, 0xffff, v36
	v_sub_f32_e32 v28, v13, v16
	v_sub_f32_e32 v30, v12, v17
	;; [unrolled: 1-line block ×4, first 2 shown]
	v_lshl_add_u32 v106, v36, 3, v101
	v_mul_u32_u24_e32 v105, 6, v110
	s_waitcnt lgkmcnt(0)
	s_barrier
	buffer_gl0_inv
	ds_write_b128 v106, v[20:23]
	ds_write_b128 v106, v[24:27] offset:16
	ds_write_b128 v106, v[32:35] offset:32
	s_and_saveexec_b32 s0, vcc_lo
	s_cbranch_execz .LBB0_7
; %bb.6:
	v_add_f32_e32 v1, v1, v5
	v_add_f32_e32 v3, v3, v7
	;; [unrolled: 1-line block ×11, first 2 shown]
	v_sub_f32_e32 v3, v4, v5
	v_add_f32_e32 v5, v4, v5
	v_sub_f32_e32 v2, v0, v8
	v_add_f32_e32 v4, v0, v8
	v_lshl_add_u32 v8, v105, 3, v101
	v_add_f32_e32 v0, v12, v17
	ds_write_b128 v8, v[4:7]
	ds_write_b128 v8, v[0:3] offset:16
	ds_write_b128 v8, v[28:31] offset:32
.LBB0_7:
	s_or_b32 exec_lo, exec_lo, s0
	v_and_b32_e32 v0, 0xff, v100
	s_waitcnt lgkmcnt(0)
	s_barrier
	buffer_gl0_inv
	v_add_nc_u32_e32 v27, 0xc00, v99
	v_mul_lo_u16 v0, 0xab, v0
	v_mov_b32_e32 v36, 60
	v_add_nc_u32_e32 v37, 0x1000, v99
	v_add_nc_u32_e32 v48, 0x1600, v99
	v_lshrrev_b16 v25, 10, v0
	v_mul_lo_u16 v0, v25, 6
	v_mul_u32_u24_sdwa v25, v25, v36 dst_sel:DWORD dst_unused:UNUSED_PAD src0_sel:WORD_0 src1_sel:DWORD
	v_sub_nc_u16 v0, v100, v0
	v_and_b32_e32 v26, 0xff, v0
	v_mad_u64_u32 v[16:17], null, 0x48, v26, s[2:3]
	v_add_nc_u32_e32 v25, v25, v26
	s_clause 0x4
	global_load_dwordx4 v[12:15], v[16:17], off
	global_load_dwordx4 v[8:11], v[16:17], off offset:16
	global_load_dwordx4 v[4:7], v[16:17], off offset:32
	;; [unrolled: 1-line block ×3, first 2 shown]
	global_load_dwordx2 v[85:86], v[16:17], off offset:64
	v_add_nc_u32_e32 v16, 0x400, v99
	ds_read2_b64 v[17:20], v99 offset1:108
	ds_read2_b64 v[32:35], v27 offset0:48 offset1:156
	ds_read2_b64 v[36:39], v37 offset0:136 offset1:244
	v_lshl_add_u32 v104, v25, 3, v101
	ds_read2_b64 v[21:24], v16 offset0:88 offset1:196
	v_add_nc_u32_e32 v16, 0x1800, v99
	v_add_nc_u32_e32 v27, 0xa00, v99
	ds_read2_b64 v[40:43], v16 offset0:96 offset1:204
	s_waitcnt vmcnt(0) lgkmcnt(0)
	s_barrier
	buffer_gl0_inv
	v_mul_f32_e32 v25, v20, v13
	v_mul_f32_e32 v26, v19, v13
	;; [unrolled: 1-line block ×18, first 2 shown]
	v_fma_f32 v25, v19, v12, -v25
	v_fmac_f32_e32 v26, v20, v12
	v_fma_f32 v19, v21, v14, -v44
	v_fmac_f32_e32 v45, v22, v14
	;; [unrolled: 2-line block ×9, first 2 shown]
	v_add_f32_e32 v34, v17, v19
	v_add_f32_e32 v35, v21, v23
	v_sub_f32_e32 v38, v19, v21
	v_sub_f32_e32 v39, v32, v23
	v_add_f32_e32 v40, v19, v32
	v_sub_f32_e32 v41, v21, v19
	v_sub_f32_e32 v42, v23, v32
	;; [unrolled: 3-line block ×3, first 2 shown]
	v_add_f32_e32 v59, v22, v24
	v_add_f32_e32 v91, v26, v47
	;; [unrolled: 1-line block ×6, first 2 shown]
	v_sub_f32_e32 v36, v45, v58
	v_sub_f32_e32 v37, v50, v54
	v_add_f32_e32 v44, v50, v54
	v_sub_f32_e32 v46, v21, v23
	v_add_f32_e32 v53, v45, v58
	v_sub_f32_e32 v45, v50, v45
	v_sub_f32_e32 v61, v47, v60
	;; [unrolled: 1-line block ×5, first 2 shown]
	v_add_f32_e32 v21, v34, v21
	v_add_f32_e32 v34, v38, v39
	;; [unrolled: 1-line block ×3, first 2 shown]
	v_fma_f32 v35, -0.5, v35, v17
	v_fma_f32 v39, -0.5, v40, v17
	v_add_f32_e32 v17, v43, v50
	v_add_f32_e32 v40, v49, v51
	v_fma_f32 v42, -0.5, v59, v25
	v_add_f32_e32 v49, v91, v52
	v_fma_f32 v50, -0.5, v92, v26
	v_sub_f32_e32 v62, v52, v56
	v_sub_f32_e32 v93, v22, v24
	v_add_f32_e32 v22, v57, v22
	v_fmac_f32_e32 v25, -0.5, v88
	v_fmac_f32_e32 v26, -0.5, v96
	v_sub_f32_e32 v87, v33, v24
	v_sub_f32_e32 v94, v47, v52
	;; [unrolled: 1-line block ×4, first 2 shown]
	v_add_f32_e32 v21, v21, v23
	v_fmamk_f32 v23, v61, 0x3f737871, v42
	v_add_f32_e32 v49, v49, v56
	v_fmamk_f32 v56, v20, 0xbf737871, v50
	v_sub_f32_e32 v55, v54, v58
	v_sub_f32_e32 v90, v24, v33
	;; [unrolled: 1-line block ×3, first 2 shown]
	v_fma_f32 v41, -0.5, v53, v18
	v_add_f32_e32 v22, v22, v24
	v_fmamk_f32 v24, v62, 0xbf737871, v25
	v_fmac_f32_e32 v25, 0x3f737871, v62
	v_fmamk_f32 v57, v93, 0x3f737871, v26
	v_fmac_f32_e32 v26, 0xbf737871, v93
	v_fmac_f32_e32 v42, 0xbf737871, v61
	v_fmac_f32_e32 v50, 0x3f737871, v20
	v_sub_f32_e32 v19, v19, v32
	v_fma_f32 v43, -0.5, v44, v18
	v_add_f32_e32 v44, v63, v87
	v_add_f32_e32 v51, v94, v95
	v_fmamk_f32 v52, v36, 0x3f737871, v35
	v_fmac_f32_e32 v35, 0xbf737871, v36
	v_fmac_f32_e32 v23, 0x3f167918, v62
	;; [unrolled: 1-line block ×3, first 2 shown]
	v_add_f32_e32 v18, v45, v55
	v_add_f32_e32 v45, v89, v90
	;; [unrolled: 1-line block ×4, first 2 shown]
	v_fmamk_f32 v55, v46, 0x3f737871, v41
	v_fmac_f32_e32 v41, 0xbf737871, v46
	v_fmac_f32_e32 v24, 0x3f167918, v61
	;; [unrolled: 1-line block ×7, first 2 shown]
	v_fmamk_f32 v54, v19, 0xbf737871, v43
	v_fmac_f32_e32 v52, 0x3f167918, v37
	v_fmac_f32_e32 v35, 0xbf167918, v37
	;; [unrolled: 1-line block ×4, first 2 shown]
	v_fmamk_f32 v53, v37, 0xbf737871, v39
	v_fmac_f32_e32 v39, 0x3f737871, v37
	v_fmac_f32_e32 v43, 0x3f737871, v19
	v_add_f32_e32 v21, v21, v32
	v_add_f32_e32 v32, v17, v58
	v_fmac_f32_e32 v55, 0xbf167918, v19
	v_fmac_f32_e32 v41, 0x3f167918, v19
	v_add_f32_e32 v19, v22, v33
	v_add_f32_e32 v22, v49, v60
	v_fmac_f32_e32 v24, 0x3e9e377a, v45
	v_fmac_f32_e32 v25, 0x3e9e377a, v45
	;; [unrolled: 1-line block ×9, first 2 shown]
	v_mul_f32_e32 v34, 0x3f167918, v56
	v_mul_f32_e32 v44, 0xbf167918, v23
	v_fmac_f32_e32 v53, 0x3f167918, v36
	v_fmac_f32_e32 v39, 0xbf167918, v36
	;; [unrolled: 1-line block ×5, first 2 shown]
	v_add_f32_e32 v17, v21, v19
	v_add_f32_e32 v18, v32, v22
	v_sub_f32_e32 v19, v21, v19
	v_sub_f32_e32 v20, v32, v22
	v_mul_f32_e32 v37, 0x3f737871, v57
	v_mul_f32_e32 v21, 0x3e9e377a, v25
	;; [unrolled: 1-line block ×6, first 2 shown]
	v_fmac_f32_e32 v54, 0x3e9e377a, v40
	v_fmac_f32_e32 v34, 0x3f4f1bbd, v23
	;; [unrolled: 1-line block ×7, first 2 shown]
	v_fma_f32 v40, 0x3f737871, v26, -v21
	v_fmac_f32_e32 v45, 0x3e9e377a, v57
	v_fma_f32 v47, 0xbf737871, v25, -v32
	v_fma_f32 v46, 0x3f167918, v50, -v22
	;; [unrolled: 1-line block ×3, first 2 shown]
	v_add_f32_e32 v21, v52, v34
	v_add_f32_e32 v22, v54, v44
	;; [unrolled: 1-line block ×8, first 2 shown]
	v_sub_f32_e32 v36, v52, v34
	v_sub_f32_e32 v38, v53, v37
	;; [unrolled: 1-line block ×8, first 2 shown]
	ds_write2_b64 v104, v[17:18], v[21:22] offset1:6
	ds_write2_b64 v104, v[23:24], v[25:26] offset0:12 offset1:18
	ds_write2_b64 v104, v[32:33], v[19:20] offset0:24 offset1:30
	;; [unrolled: 1-line block ×4, first 2 shown]
	s_waitcnt lgkmcnt(0)
	s_barrier
	buffer_gl0_inv
	ds_read2_b64 v[44:47], v99 offset1:180
	ds_read2_b64 v[52:55], v27 offset0:40 offset1:220
	ds_read2_b64 v[48:51], v48 offset0:16 offset1:196
	s_and_saveexec_b32 s0, vcc_lo
	s_cbranch_execz .LBB0_9
; %bb.8:
	v_add_nc_u32_e32 v17, 0x200, v99
	v_add_nc_u32_e32 v18, 0xe00, v99
	ds_read2_b64 v[36:39], v17 offset0:44 offset1:224
	ds_read2_b64 v[40:43], v18 offset0:20 offset1:200
	;; [unrolled: 1-line block ×3, first 2 shown]
.LBB0_9:
	s_or_b32 exec_lo, exec_lo, s0
	v_subrev_nc_u32_e32 v16, 60, v100
	v_cmp_gt_u16_e64 s0, 60, v100
	v_and_b32_e32 v18, 0xff, v110
	v_cndmask_b32_e64 v58, v16, v100, s0
	v_mul_lo_u16 v18, 0x89, v18
	v_mul_i32_i24_e32 v16, 40, v58
	v_mul_hi_i32_i24_e32 v17, 40, v58
	v_lshrrev_b16 v102, 13, v18
	v_add_co_u32 v16, s0, s2, v16
	v_add_co_ci_u32_e64 v17, s0, s3, v17, s0
	v_cmp_lt_u16_e64 s0, 59, v100
	s_clause 0x2
	global_load_dwordx4 v[20:23], v[16:17], off offset:432
	global_load_dwordx4 v[32:35], v[16:17], off offset:448
	global_load_dwordx2 v[89:90], v[16:17], off offset:464
	v_mul_lo_u16 v16, v102, 60
	v_sub_nc_u16 v16, v110, v16
	v_and_b32_e32 v103, 0xff, v16
	v_mad_u64_u32 v[56:57], null, v103, 40, s[2:3]
	s_clause 0x2
	global_load_dwordx4 v[24:27], v[56:57], off offset:432
	global_load_dwordx4 v[16:19], v[56:57], off offset:448
	global_load_dwordx2 v[87:88], v[56:57], off offset:464
	v_cndmask_b32_e64 v56, 0, 0x168, s0
	s_waitcnt vmcnt(0) lgkmcnt(0)
	s_barrier
	buffer_gl0_inv
	v_add_nc_u32_e32 v56, v58, v56
	v_lshl_add_u32 v108, v56, 3, v101
	v_add_nc_u32_e32 v56, 0x400, v108
	v_mul_f32_e32 v57, v47, v21
	v_mul_f32_e32 v58, v46, v21
	;; [unrolled: 1-line block ×10, first 2 shown]
	v_fma_f32 v57, v46, v20, -v57
	v_fmac_f32_e32 v58, v47, v20
	v_fma_f32 v46, v52, v22, -v59
	v_fmac_f32_e32 v60, v53, v22
	;; [unrolled: 2-line block ×5, first 2 shown]
	v_add_f32_e32 v53, v45, v60
	v_add_f32_e32 v51, v46, v48
	v_sub_f32_e32 v52, v60, v91
	v_add_f32_e32 v54, v60, v91
	v_add_f32_e32 v59, v47, v49
	v_sub_f32_e32 v60, v62, v93
	v_add_f32_e32 v61, v58, v62
	v_add_f32_e32 v62, v62, v93
	;; [unrolled: 1-line block ×4, first 2 shown]
	v_fma_f32 v63, -0.5, v51, v44
	v_fmac_f32_e32 v57, -0.5, v59
	v_add_f32_e32 v51, v61, v93
	v_fmac_f32_e32 v58, -0.5, v62
	v_mul_f32_e32 v59, v38, v25
	v_mul_f32_e32 v61, v43, v17
	;; [unrolled: 1-line block ×5, first 2 shown]
	v_sub_f32_e32 v46, v46, v48
	v_sub_f32_e32 v47, v47, v49
	v_add_f32_e32 v48, v50, v48
	v_add_f32_e32 v50, v53, v91
	v_fma_f32 v91, -0.5, v54, v45
	v_mul_f32_e32 v53, v39, v25
	v_mul_f32_e32 v54, v41, v27
	;; [unrolled: 1-line block ×3, first 2 shown]
	v_fmac_f32_e32 v59, v39, v24
	v_fma_f32 v39, v42, v16, -v61
	v_fmac_f32_e32 v62, v43, v16
	v_fma_f32 v30, v30, v87, -v94
	v_fmac_f32_e32 v95, v31, v87
	v_add_f32_e32 v49, v55, v49
	v_mul_f32_e32 v55, v40, v27
	v_mul_f32_e32 v93, v28, v19
	v_fmamk_f32 v96, v52, 0x3f5db3d7, v63
	v_fmac_f32_e32 v63, 0xbf5db3d7, v52
	v_fmamk_f32 v52, v60, 0x3f5db3d7, v57
	v_fmac_f32_e32 v57, 0xbf5db3d7, v60
	;; [unrolled: 2-line block ×3, first 2 shown]
	v_add_f32_e32 v45, v50, v51
	v_sub_f32_e32 v47, v50, v51
	v_fma_f32 v98, v38, v24, -v53
	v_fma_f32 v38, v40, v26, -v54
	;; [unrolled: 1-line block ×3, first 2 shown]
	v_add_f32_e32 v50, v39, v30
	v_add_f32_e32 v53, v62, v95
	v_fmac_f32_e32 v55, v41, v26
	v_fmac_f32_e32 v93, v29, v18
	v_mul_f32_e32 v41, -0.5, v57
	v_mul_f32_e32 v42, 0xbf5db3d7, v52
	v_mul_f32_e32 v43, -0.5, v58
	v_add_f32_e32 v29, v36, v38
	v_add_f32_e32 v31, v38, v28
	v_sub_f32_e32 v92, v38, v28
	v_add_f32_e32 v38, v98, v39
	v_sub_f32_e32 v94, v62, v95
	v_add_f32_e32 v51, v59, v62
	v_sub_f32_e32 v39, v39, v30
	v_fmac_f32_e32 v98, -0.5, v50
	v_fmac_f32_e32 v59, -0.5, v53
	v_fmamk_f32 v97, v46, 0xbf5db3d7, v91
	v_fmac_f32_e32 v91, 0x3f5db3d7, v46
	v_add_f32_e32 v44, v48, v49
	v_sub_f32_e32 v46, v48, v49
	v_mul_f32_e32 v40, 0x3f5db3d7, v60
	v_add_f32_e32 v49, v55, v93
	v_fmac_f32_e32 v41, 0x3f5db3d7, v58
	v_fmac_f32_e32 v42, 0.5, v60
	v_fmac_f32_e32 v43, 0xbf5db3d7, v57
	v_fmamk_f32 v57, v94, 0x3f5db3d7, v98
	v_fmamk_f32 v58, v39, 0xbf5db3d7, v59
	v_fmac_f32_e32 v98, 0xbf5db3d7, v94
	v_fmac_f32_e32 v59, 0x3f5db3d7, v39
	v_sub_f32_e32 v61, v55, v93
	v_add_f32_e32 v48, v37, v55
	v_fmac_f32_e32 v40, 0.5, v52
	v_fmac_f32_e32 v36, -0.5, v31
	v_fmac_f32_e32 v37, -0.5, v49
	v_add_f32_e32 v31, v51, v95
	v_add_f32_e32 v50, v63, v41
	v_add_f32_e32 v49, v97, v42
	v_add_f32_e32 v51, v91, v43
	v_sub_f32_e32 v54, v63, v41
	v_sub_f32_e32 v53, v97, v42
	v_sub_f32_e32 v55, v91, v43
	v_mul_f32_e32 v41, 0x3f5db3d7, v58
	v_mul_f32_e32 v39, -0.5, v98
	v_mul_f32_e32 v42, 0xbf5db3d7, v57
	v_mul_f32_e32 v43, -0.5, v59
	v_add_f32_e32 v28, v29, v28
	v_add_f32_e32 v29, v48, v93
	;; [unrolled: 1-line block ×4, first 2 shown]
	v_sub_f32_e32 v52, v96, v40
	v_fmamk_f32 v38, v61, 0x3f5db3d7, v36
	v_fmac_f32_e32 v36, 0xbf5db3d7, v61
	v_fmamk_f32 v40, v92, 0xbf5db3d7, v37
	v_fmac_f32_e32 v37, 0x3f5db3d7, v92
	v_fmac_f32_e32 v41, 0.5, v57
	v_fmac_f32_e32 v39, 0x3f5db3d7, v59
	v_fmac_f32_e32 v42, 0.5, v58
	v_fmac_f32_e32 v43, 0xbf5db3d7, v98
	v_sub_f32_e32 v91, v28, v30
	v_sub_f32_e32 v92, v29, v31
	;; [unrolled: 1-line block ×6, first 2 shown]
	ds_write2_b64 v108, v[44:45], v[48:49] offset1:60
	ds_write2_b64 v108, v[50:51], v[46:47] offset0:120 offset1:180
	ds_write2_b64 v56, v[52:53], v[54:55] offset0:112 offset1:172
	s_and_saveexec_b32 s0, vcc_lo
	s_cbranch_execz .LBB0_11
; %bb.10:
	v_mov_b32_e32 v44, 0x168
	v_add_f32_e32 v42, v40, v42
	v_add_f32_e32 v29, v29, v31
	;; [unrolled: 1-line block ×4, first 2 shown]
	v_mul_u32_u24_sdwa v44, v102, v44 dst_sel:DWORD dst_unused:UNUSED_PAD src0_sel:WORD_0 src1_sel:DWORD
	v_add_f32_e32 v37, v37, v43
	v_add_f32_e32 v36, v36, v39
	v_add_nc_u32_e32 v44, v44, v103
	v_lshl_add_u32 v40, v44, 3, v101
	v_add_nc_u32_e32 v30, 0x400, v40
	ds_write2_b64 v40, v[28:29], v[41:42] offset1:60
	ds_write2_b64 v40, v[36:37], v[91:92] offset0:120 offset1:180
	ds_write2_b64 v30, v[93:94], v[95:96] offset0:112 offset1:172
.LBB0_11:
	s_or_b32 exec_lo, exec_lo, s0
	v_add_nc_u32_e32 v28, 0x400, v99
	v_add_nc_u32_e32 v29, 0x1400, v99
	;; [unrolled: 1-line block ×3, first 2 shown]
	s_waitcnt lgkmcnt(0)
	s_barrier
	buffer_gl0_inv
	ds_read2_b64 v[52:55], v99 offset1:108
	ds_read2_b64 v[48:51], v28 offset0:88 offset1:232
	ds_read2_b64 v[60:63], v29 offset0:80 offset1:188
	ds_read2_b64 v[56:59], v30 offset0:84 offset1:192
	ds_read_b64 v[97:98], v99 offset:7488
	v_cmp_gt_u16_e64 s0, 36, v100
	s_and_saveexec_b32 s1, s0
	s_cbranch_execz .LBB0_13
; %bb.12:
	ds_read_b64 v[91:92], v99 offset:2592
	ds_read_b64 v[93:94], v99 offset:5472
	;; [unrolled: 1-line block ×3, first 2 shown]
.LBB0_13:
	s_or_b32 exec_lo, exec_lo, s1
	v_lshlrev_b32_e32 v36, 4, v100
	v_lshlrev_b32_e32 v28, 4, v110
	v_lshl_add_u32 v107, v109, 3, v107
	v_add_co_u32 v29, s1, s2, v36
	v_add_co_ci_u32_e64 v30, null, s3, 0, s1
	v_add_co_u32 v31, s1, s2, v28
	v_add_co_ci_u32_e64 v37, null, s3, 0, s1
	v_add_co_u32 v28, s1, 0x800, v29
	v_add_co_ci_u32_e64 v29, s1, 0, v30, s1
	v_add_co_u32 v30, s1, 0x800, v31
	v_add_nc_u32_e32 v40, 0xd80, v36
	v_add_co_ci_u32_e64 v31, s1, 0, v37, s1
	v_add_co_u32 v41, s1, 0x144, v100
	v_add_co_ci_u32_e64 v42, null, 0, 0, s1
	s_clause 0x1
	global_load_dwordx4 v[44:47], v[28:29], off offset:784
	global_load_dwordx4 v[36:39], v[30:31], off offset:784
	v_add_co_u32 v28, s1, s2, v40
	v_add_co_ci_u32_e64 v29, null, s3, 0, s1
	v_add_co_u32 v30, s1, 0xffffffdc, v100
	v_add_co_ci_u32_e64 v31, null, 0, -1, s1
	v_add_co_u32 v28, s1, 0x800, v28
	v_add_co_ci_u32_e64 v29, s1, 0, v29, s1
	v_cndmask_b32_e64 v31, v31, v42, s0
	v_cndmask_b32_e64 v30, v30, v41, s0
	global_load_dwordx4 v[40:43], v[28:29], off offset:784
	v_lshlrev_b64 v[28:29], 4, v[30:31]
	v_add_co_u32 v28, s1, s2, v28
	v_add_co_ci_u32_e64 v29, s1, s3, v29, s1
	v_add_co_u32 v28, s1, 0x800, v28
	v_add_co_ci_u32_e64 v29, s1, 0, v29, s1
	global_load_dwordx4 v[28:31], v[28:29], off offset:784
	s_waitcnt vmcnt(3) lgkmcnt(3)
	v_mul_f32_e32 v109, v51, v45
	v_mul_f32_e32 v110, v50, v45
	s_waitcnt lgkmcnt(2)
	v_mul_f32_e32 v111, v61, v47
	v_mul_f32_e32 v112, v60, v47
	s_waitcnt vmcnt(2) lgkmcnt(1)
	v_mul_f32_e32 v114, v56, v37
	v_mul_f32_e32 v115, v63, v39
	;; [unrolled: 1-line block ×4, first 2 shown]
	v_fma_f32 v50, v50, v44, -v109
	v_fmac_f32_e32 v110, v51, v44
	v_fma_f32 v51, v60, v46, -v111
	v_fmac_f32_e32 v112, v61, v46
	v_fmac_f32_e32 v114, v57, v36
	v_fma_f32 v57, v62, v38, -v115
	v_fma_f32 v56, v56, v36, -v113
	v_fmac_f32_e32 v116, v63, v38
	v_sub_f32_e32 v63, v110, v112
	s_waitcnt vmcnt(1)
	v_mul_f32_e32 v60, v59, v41
	v_mul_f32_e32 v61, v58, v41
	s_waitcnt lgkmcnt(0)
	v_mul_f32_e32 v62, v98, v43
	v_mul_f32_e32 v109, v97, v43
	v_add_f32_e32 v113, v56, v57
	v_fma_f32 v58, v58, v40, -v60
	v_fmac_f32_e32 v61, v59, v40
	v_fma_f32 v62, v97, v42, -v62
	v_fmac_f32_e32 v109, v98, v42
	v_add_f32_e32 v59, v52, v50
	v_add_f32_e32 v97, v53, v110
	;; [unrolled: 1-line block ×4, first 2 shown]
	v_sub_f32_e32 v110, v50, v51
	v_sub_f32_e32 v115, v114, v116
	v_add_f32_e32 v117, v55, v114
	v_add_f32_e32 v114, v114, v116
	;; [unrolled: 1-line block ×4, first 2 shown]
	v_fma_f32 v53, -0.5, v98, v53
	v_add_f32_e32 v97, v48, v58
	s_waitcnt vmcnt(0)
	v_mul_f32_e32 v119, v94, v29
	v_mul_f32_e32 v120, v93, v29
	;; [unrolled: 1-line block ×4, first 2 shown]
	v_add_f32_e32 v111, v54, v56
	v_fma_f32 v93, v93, v28, -v119
	v_fmac_f32_e32 v120, v94, v28
	v_fma_f32 v95, v95, v30, -v121
	v_fmac_f32_e32 v122, v96, v30
	v_fma_f32 v52, -0.5, v60, v52
	v_fma_f32 v54, -0.5, v113, v54
	v_fmac_f32_e32 v55, -0.5, v114
	v_add_f32_e32 v98, v58, v62
	v_add_f32_e32 v112, v49, v61
	;; [unrolled: 1-line block ×3, first 2 shown]
	v_sub_f32_e32 v114, v58, v62
	v_fmamk_f32 v59, v110, 0xbf5db3d7, v53
	v_fmac_f32_e32 v53, 0x3f5db3d7, v110
	v_add_f32_e32 v62, v97, v62
	v_add_f32_e32 v97, v93, v95
	v_add_f32_e32 v110, v120, v122
	v_sub_f32_e32 v118, v56, v57
	v_add_f32_e32 v56, v111, v57
	v_sub_f32_e32 v111, v61, v109
	v_fmamk_f32 v58, v63, 0x3f5db3d7, v52
	v_fmac_f32_e32 v52, 0xbf5db3d7, v63
	v_fma_f32 v48, -0.5, v98, v48
	v_add_f32_e32 v63, v112, v109
	v_fmac_f32_e32 v49, -0.5, v113
	v_add_f32_e32 v96, v91, v93
	v_sub_f32_e32 v109, v120, v122
	v_add_f32_e32 v98, v92, v120
	v_sub_f32_e32 v112, v93, v95
	v_fmac_f32_e32 v91, -0.5, v97
	v_fmac_f32_e32 v92, -0.5, v110
	v_add_f32_e32 v57, v117, v116
	v_fmamk_f32 v60, v115, 0x3f5db3d7, v54
	v_fmamk_f32 v61, v118, 0xbf5db3d7, v55
	;; [unrolled: 1-line block ×3, first 2 shown]
	v_fmac_f32_e32 v48, 0xbf5db3d7, v111
	v_fmamk_f32 v94, v114, 0xbf5db3d7, v49
	v_fmac_f32_e32 v49, 0x3f5db3d7, v114
	v_add_f32_e32 v97, v96, v95
	v_add_f32_e32 v98, v98, v122
	v_fmamk_f32 v95, v109, 0x3f5db3d7, v91
	v_fmac_f32_e32 v91, 0xbf5db3d7, v109
	v_fmamk_f32 v96, v112, 0xbf5db3d7, v92
	v_fmac_f32_e32 v92, 0x3f5db3d7, v112
	v_fmac_f32_e32 v54, 0xbf5db3d7, v115
	;; [unrolled: 1-line block ×3, first 2 shown]
	ds_write_b64 v99, v[58:59] offset:2880
	ds_write_b64 v99, v[52:53] offset:5760
	ds_write2_b64 v99, v[50:51], v[56:57] offset1:108
	ds_write_b64 v99, v[60:61] offset:3744
	ds_write_b64 v99, v[54:55] offset:6624
	;; [unrolled: 1-line block ×5, first 2 shown]
	s_and_saveexec_b32 s1, s0
	s_cbranch_execz .LBB0_15
; %bb.14:
	ds_write_b64 v99, v[97:98] offset:2592
	ds_write_b64 v99, v[95:96] offset:5472
	;; [unrolled: 1-line block ×3, first 2 shown]
.LBB0_15:
	s_or_b32 exec_lo, exec_lo, s1
	v_add_co_u32 v52, s1, 0x2000, v70
	v_add_co_ci_u32_e64 v53, s1, 0, v71, s1
	v_add_co_u32 v54, s1, 0x2800, v70
	v_add_co_ci_u32_e64 v55, s1, 0, v71, s1
	v_add_co_u32 v56, s1, 0x3000, v70
	v_add_co_u32 v50, s2, 0x21c0, v70
	v_add_co_ci_u32_e64 v51, s2, 0, v71, s2
	v_add_co_ci_u32_e64 v57, s1, 0, v71, s1
	v_add_co_u32 v58, s1, 0x3800, v70
	v_add_co_ci_u32_e64 v59, s1, 0, v71, s1
	s_waitcnt lgkmcnt(0)
	s_barrier
	buffer_gl0_inv
	s_clause 0x5
	global_load_dwordx2 v[52:53], v[52:53], off offset:448
	global_load_dwordx2 v[60:61], v[50:51], off offset:1440
	;; [unrolled: 1-line block ×6, first 2 shown]
	v_add_nc_u32_e32 v55, 0xa00, v99
	v_add_nc_u32_e32 v54, 0x1600, v99
	ds_read2_b64 v[56:59], v99 offset1:180
	ds_read2_b64 v[109:112], v55 offset0:40 offset1:220
	ds_read2_b64 v[113:116], v54 offset0:16 offset1:196
	s_waitcnt vmcnt(3) lgkmcnt(1)
	v_mul_f32_e32 v128, v110, v118
	v_mul_f32_e32 v126, v57, v53
	;; [unrolled: 1-line block ×6, first 2 shown]
	s_waitcnt vmcnt(2)
	v_mul_f32_e32 v129, v112, v120
	v_mul_f32_e32 v118, v111, v120
	s_waitcnt vmcnt(1) lgkmcnt(0)
	v_mul_f32_e32 v130, v114, v122
	v_mul_f32_e32 v120, v113, v122
	s_waitcnt vmcnt(0)
	v_mul_f32_e32 v131, v116, v124
	v_mul_f32_e32 v122, v115, v124
	v_fma_f32 v124, v56, v52, -v126
	v_fmac_f32_e32 v125, v57, v52
	v_fma_f32 v52, v58, v60, -v127
	v_fmac_f32_e32 v53, v59, v60
	;; [unrolled: 2-line block ×6, first 2 shown]
	ds_write2_b64 v99, v[124:125], v[52:53] offset1:180
	ds_write2_b64 v55, v[60:61], v[117:118] offset0:40 offset1:220
	ds_write2_b64 v54, v[119:120], v[121:122] offset0:16 offset1:196
	s_and_saveexec_b32 s2, vcc_lo
	s_cbranch_execz .LBB0_17
; %bb.16:
	v_add_co_u32 v52, s1, 0x800, v50
	v_add_co_ci_u32_e64 v53, s1, 0, v51, s1
	v_add_co_u32 v56, s1, 0x1000, v50
	s_clause 0x1
	global_load_dwordx2 v[60:61], v[50:51], off offset:864
	global_load_dwordx2 v[113:114], v[52:53], off offset:256
	v_add_co_ci_u32_e64 v57, s1, 0, v51, s1
	v_add_co_u32 v50, s1, 0x1800, v50
	v_add_co_ci_u32_e64 v51, s1, 0, v51, s1
	s_clause 0x3
	global_load_dwordx2 v[115:116], v[52:53], off offset:1696
	global_load_dwordx2 v[117:118], v[56:57], off offset:1088
	;; [unrolled: 1-line block ×4, first 2 shown]
	v_add_nc_u32_e32 v125, 0x200, v99
	v_add_nc_u32_e32 v126, 0xe00, v99
	;; [unrolled: 1-line block ×3, first 2 shown]
	ds_read2_b64 v[50:53], v125 offset0:44 offset1:224
	ds_read2_b64 v[56:59], v126 offset0:20 offset1:200
	;; [unrolled: 1-line block ×3, first 2 shown]
	s_waitcnt vmcnt(5) lgkmcnt(2)
	v_mul_f32_e32 v123, v51, v61
	v_mul_f32_e32 v124, v50, v61
	v_fma_f32 v123, v50, v60, -v123
	v_fmac_f32_e32 v124, v51, v60
	s_waitcnt vmcnt(4)
	v_mul_f32_e32 v50, v53, v114
	v_mul_f32_e32 v51, v52, v114
	s_waitcnt vmcnt(3) lgkmcnt(1)
	v_mul_f32_e32 v60, v57, v116
	v_mul_f32_e32 v61, v56, v116
	s_waitcnt vmcnt(2)
	v_mul_f32_e32 v128, v59, v118
	v_mul_f32_e32 v114, v58, v118
	s_waitcnt vmcnt(1) lgkmcnt(0)
	v_mul_f32_e32 v129, v110, v120
	v_mul_f32_e32 v116, v109, v120
	s_waitcnt vmcnt(0)
	v_mul_f32_e32 v120, v112, v122
	v_mul_f32_e32 v118, v111, v122
	v_fma_f32 v50, v52, v113, -v50
	v_fmac_f32_e32 v51, v53, v113
	v_fma_f32 v60, v56, v115, -v60
	v_fmac_f32_e32 v61, v57, v115
	v_fma_f32 v113, v58, v117, -v128
	v_fmac_f32_e32 v114, v59, v117
	v_fma_f32 v115, v109, v119, -v129
	v_fmac_f32_e32 v116, v110, v119
	v_fma_f32 v117, v111, v121, -v120
	v_fmac_f32_e32 v118, v112, v121
	ds_write2_b64 v125, v[123:124], v[50:51] offset0:44 offset1:224
	ds_write2_b64 v126, v[60:61], v[113:114] offset0:20 offset1:200
	;; [unrolled: 1-line block ×3, first 2 shown]
.LBB0_17:
	s_or_b32 exec_lo, exec_lo, s2
	s_waitcnt lgkmcnt(0)
	s_barrier
	buffer_gl0_inv
	ds_read2_b64 v[50:53], v99 offset1:180
	ds_read2_b64 v[58:61], v55 offset0:40 offset1:220
	ds_read2_b64 v[54:57], v54 offset0:16 offset1:196
	s_and_saveexec_b32 s1, vcc_lo
	s_cbranch_execz .LBB0_19
; %bb.18:
	v_lshl_add_u32 v91, v100, 3, v101
	ds_read_b64 v[62:63], v99 offset:864
	ds_read_b64 v[48:49], v99 offset:3744
	;; [unrolled: 1-line block ×6, first 2 shown]
.LBB0_19:
	s_or_b32 exec_lo, exec_lo, s1
	s_waitcnt lgkmcnt(0)
	v_add_f32_e32 v109, v58, v54
	v_add_f32_e32 v110, v50, v58
	v_sub_f32_e32 v111, v59, v55
	v_add_f32_e32 v112, v51, v59
	v_add_f32_e32 v59, v59, v55
	v_fma_f32 v50, -0.5, v109, v50
	v_add_f32_e32 v109, v61, v57
	v_add_f32_e32 v115, v110, v54
	v_sub_f32_e32 v54, v58, v54
	v_fma_f32 v51, -0.5, v59, v51
	v_add_f32_e32 v58, v60, v56
	v_add_f32_e32 v59, v53, v61
	v_fmac_f32_e32 v53, -0.5, v109
	v_sub_f32_e32 v109, v60, v56
	v_add_f32_e32 v60, v52, v60
	v_fma_f32 v52, -0.5, v58, v52
	v_sub_f32_e32 v58, v61, v57
	v_fmamk_f32 v118, v54, 0x3f5db3d7, v51
	v_fmamk_f32 v61, v109, 0x3f5db3d7, v53
	v_fmac_f32_e32 v53, 0xbf5db3d7, v109
	v_fmac_f32_e32 v51, 0xbf5db3d7, v54
	v_add_f32_e32 v54, v60, v56
	v_fmamk_f32 v56, v58, 0xbf5db3d7, v52
	v_mul_f32_e32 v60, 0xbf5db3d7, v61
	v_fmac_f32_e32 v52, 0x3f5db3d7, v58
	v_mul_f32_e32 v58, 0xbf5db3d7, v53
	v_mul_f32_e32 v53, -0.5, v53
	v_add_f32_e32 v55, v112, v55
	v_fmamk_f32 v116, v111, 0xbf5db3d7, v50
	v_add_f32_e32 v57, v59, v57
	v_fmac_f32_e32 v60, 0.5, v56
	v_fmac_f32_e32 v58, -0.5, v52
	v_fmac_f32_e32 v53, 0x3f5db3d7, v52
	v_add_f32_e32 v52, v48, v95
	v_fmac_f32_e32 v50, 0x3f5db3d7, v111
	v_mul_f32_e32 v59, 0.5, v61
	v_add_f32_e32 v109, v115, v54
	v_add_f32_e32 v111, v116, v60
	;; [unrolled: 1-line block ×3, first 2 shown]
	v_sub_f32_e32 v115, v115, v54
	v_sub_f32_e32 v117, v116, v60
	v_fma_f32 v54, -0.5, v52, v62
	v_sub_f32_e32 v116, v55, v57
	v_add_f32_e32 v52, v49, v96
	v_add_f32_e32 v57, v98, v92
	v_fmac_f32_e32 v59, 0x3f5db3d7, v56
	v_add_f32_e32 v113, v50, v58
	v_sub_f32_e32 v119, v50, v58
	v_sub_f32_e32 v50, v49, v96
	v_add_f32_e32 v58, v97, v91
	v_fma_f32 v56, -0.5, v52, v63
	v_fma_f32 v52, -0.5, v57, v94
	v_sub_f32_e32 v57, v97, v91
	v_fmamk_f32 v55, v50, 0xbf5db3d7, v54
	v_fma_f32 v121, -0.5, v58, v93
	v_sub_f32_e32 v58, v98, v92
	v_fmac_f32_e32 v54, 0x3f5db3d7, v50
	v_fmamk_f32 v50, v57, 0x3f5db3d7, v52
	v_fmac_f32_e32 v52, 0xbf5db3d7, v57
	v_add_f32_e32 v112, v118, v59
	v_sub_f32_e32 v118, v118, v59
	v_sub_f32_e32 v120, v48, v95
	v_fmamk_f32 v122, v58, 0xbf5db3d7, v121
	v_fmac_f32_e32 v121, 0x3f5db3d7, v58
	v_mul_f32_e32 v58, 0xbf5db3d7, v50
	v_mul_f32_e32 v59, 0xbf5db3d7, v52
	v_mul_f32_e32 v60, 0.5, v50
	v_mul_f32_e32 v61, -0.5, v52
	v_fmamk_f32 v57, v120, 0x3f5db3d7, v56
	v_fmac_f32_e32 v56, 0xbf5db3d7, v120
	v_fmac_f32_e32 v58, 0.5, v122
	v_fmac_f32_e32 v59, -0.5, v121
	v_fmac_f32_e32 v60, 0x3f5db3d7, v122
	v_fmac_f32_e32 v61, 0x3f5db3d7, v121
	v_add_f32_e32 v114, v51, v53
	v_sub_f32_e32 v120, v51, v53
	v_sub_f32_e32 v50, v55, v58
	;; [unrolled: 1-line block ×5, first 2 shown]
	s_barrier
	buffer_gl0_inv
	ds_write_b128 v106, v[109:112]
	ds_write_b128 v106, v[113:116] offset:16
	ds_write_b128 v106, v[117:120] offset:32
	s_and_saveexec_b32 s1, vcc_lo
	s_cbranch_execz .LBB0_21
; %bb.20:
	v_add_f32_e32 v49, v63, v49
	v_add_f32_e32 v63, v94, v98
	v_add_f32_e32 v48, v62, v48
	v_add_f32_e32 v62, v93, v97
	v_add_f32_e32 v94, v57, v60
	v_add_f32_e32 v49, v49, v96
	v_add_f32_e32 v92, v63, v92
	v_add_f32_e32 v48, v48, v95
	v_add_f32_e32 v91, v62, v91
	v_add_f32_e32 v93, v55, v58
	v_add_f32_e32 v61, v56, v61
	v_sub_f32_e32 v63, v49, v92
	v_add_f32_e32 v92, v49, v92
	v_sub_f32_e32 v62, v48, v91
	v_add_f32_e32 v91, v48, v91
	v_lshl_add_u32 v48, v105, 3, v101
	v_add_f32_e32 v60, v54, v59
	ds_write_b128 v48, v[91:94]
	ds_write_b128 v48, v[60:63] offset:16
	ds_write_b128 v48, v[50:53] offset:32
.LBB0_21:
	s_or_b32 exec_lo, exec_lo, s1
	v_add_nc_u32_e32 v48, 0x400, v99
	s_waitcnt lgkmcnt(0)
	s_barrier
	buffer_gl0_inv
	ds_read2_b64 v[54:57], v99 offset1:108
	v_add_nc_u32_e32 v49, 0xc00, v99
	ds_read2_b64 v[58:61], v48 offset0:88 offset1:196
	v_add_nc_u32_e32 v48, 0x1000, v99
	ds_read2_b64 v[91:94], v49 offset0:48 offset1:156
	ds_read2_b64 v[95:98], v48 offset0:136 offset1:244
	v_add_nc_u32_e32 v48, 0x1800, v99
	ds_read2_b64 v[109:112], v48 offset0:96 offset1:204
	s_waitcnt lgkmcnt(0)
	s_barrier
	buffer_gl0_inv
	v_mul_f32_e32 v49, v13, v57
	v_mul_f32_e32 v13, v13, v56
	v_fmac_f32_e32 v49, v12, v56
	v_fma_f32 v13, v12, v57, -v13
	v_mul_f32_e32 v57, v11, v92
	v_mul_f32_e32 v62, v5, v94
	;; [unrolled: 1-line block ×6, first 2 shown]
	v_fmac_f32_e32 v57, v10, v91
	v_fmac_f32_e32 v62, v4, v93
	v_mul_f32_e32 v7, v7, v95
	v_fma_f32 v4, v4, v94, -v5
	v_fmac_f32_e32 v63, v6, v95
	v_mul_f32_e32 v5, v3, v109
	v_mul_f32_e32 v3, v3, v110
	;; [unrolled: 1-line block ×5, first 2 shown]
	v_fmac_f32_e32 v12, v14, v58
	v_fma_f32 v14, v14, v59, -v15
	v_fma_f32 v6, v6, v96, -v7
	v_add_f32_e32 v7, v57, v63
	v_fma_f32 v5, v2, v110, -v5
	v_fmac_f32_e32 v3, v2, v109
	v_fmac_f32_e32 v56, v8, v60
	v_fma_f32 v8, v8, v61, -v9
	v_fma_f32 v9, v10, v92, -v11
	v_mul_f32_e32 v10, v1, v98
	v_mul_f32_e32 v1, v1, v97
	v_add_f32_e32 v15, v54, v12
	v_fma_f32 v7, -0.5, v7, v54
	v_sub_f32_e32 v58, v14, v5
	v_sub_f32_e32 v59, v12, v57
	;; [unrolled: 1-line block ×3, first 2 shown]
	v_add_f32_e32 v61, v12, v3
	v_fmac_f32_e32 v10, v0, v97
	v_mul_f32_e32 v11, v86, v112
	v_fma_f32 v0, v0, v98, -v1
	v_add_f32_e32 v1, v15, v57
	v_fmamk_f32 v2, v58, 0xbf737871, v7
	v_sub_f32_e32 v15, v9, v6
	v_mul_f32_e32 v86, v86, v111
	v_add_f32_e32 v59, v59, v60
	v_fma_f32 v60, -0.5, v61, v54
	v_fmac_f32_e32 v7, 0x3f737871, v58
	v_add_f32_e32 v91, v55, v14
	v_fmac_f32_e32 v11, v85, v111
	v_add_f32_e32 v1, v1, v63
	v_fmac_f32_e32 v2, 0xbf167918, v15
	v_fma_f32 v54, v85, v112, -v86
	v_fmamk_f32 v61, v15, 0x3f737871, v60
	v_sub_f32_e32 v85, v57, v12
	v_sub_f32_e32 v86, v63, v3
	v_fmac_f32_e32 v7, 0x3f167918, v15
	v_fmac_f32_e32 v60, 0xbf737871, v15
	v_add_f32_e32 v15, v91, v9
	v_add_f32_e32 v92, v9, v6
	;; [unrolled: 1-line block ×3, first 2 shown]
	v_fmac_f32_e32 v61, 0xbf167918, v58
	v_add_f32_e32 v85, v85, v86
	v_sub_f32_e32 v3, v12, v3
	v_fmac_f32_e32 v60, 0x3f167918, v58
	v_add_f32_e32 v12, v15, v6
	v_add_f32_e32 v15, v14, v5
	v_fma_f32 v86, -0.5, v92, v55
	v_fmac_f32_e32 v2, 0x3e9e377a, v59
	v_fmac_f32_e32 v7, 0x3e9e377a, v59
	;; [unrolled: 1-line block ×3, first 2 shown]
	v_sub_f32_e32 v57, v57, v63
	v_sub_f32_e32 v59, v14, v9
	;; [unrolled: 1-line block ×3, first 2 shown]
	v_fmac_f32_e32 v60, 0x3e9e377a, v85
	v_fma_f32 v85, -0.5, v15, v55
	v_add_f32_e32 v91, v12, v5
	v_sub_f32_e32 v9, v9, v14
	v_sub_f32_e32 v5, v6, v5
	v_add_f32_e32 v6, v49, v56
	v_fmamk_f32 v58, v3, 0x3f737871, v86
	v_fmac_f32_e32 v86, 0xbf737871, v3
	v_add_f32_e32 v12, v59, v63
	v_fmamk_f32 v59, v57, 0xbf737871, v85
	v_add_f32_e32 v5, v9, v5
	v_fmac_f32_e32 v85, 0x3f737871, v57
	v_add_f32_e32 v6, v6, v62
	v_add_f32_e32 v9, v62, v10
	v_fmac_f32_e32 v58, 0x3f167918, v57
	v_fmac_f32_e32 v86, 0xbf167918, v57
	;; [unrolled: 1-line block ×4, first 2 shown]
	v_add_f32_e32 v3, v6, v10
	v_fma_f32 v6, -0.5, v9, v49
	v_add_f32_e32 v9, v56, v11
	v_fmac_f32_e32 v58, 0x3e9e377a, v12
	v_fmac_f32_e32 v86, 0x3e9e377a, v12
	v_sub_f32_e32 v12, v8, v54
	v_fmac_f32_e32 v59, 0x3e9e377a, v5
	v_fmac_f32_e32 v85, 0x3e9e377a, v5
	v_sub_f32_e32 v5, v4, v0
	v_fmac_f32_e32 v49, -0.5, v9
	v_fmamk_f32 v9, v12, 0xbf737871, v6
	v_fmac_f32_e32 v6, 0x3f737871, v12
	v_sub_f32_e32 v14, v56, v62
	v_sub_f32_e32 v15, v11, v10
	v_fmamk_f32 v55, v5, 0x3f737871, v49
	v_fmac_f32_e32 v49, 0xbf737871, v5
	v_sub_f32_e32 v57, v62, v56
	v_sub_f32_e32 v63, v10, v11
	v_fmac_f32_e32 v9, 0xbf167918, v5
	v_fmac_f32_e32 v6, 0x3f167918, v5
	v_add_f32_e32 v5, v4, v0
	v_add_f32_e32 v14, v14, v15
	v_fmac_f32_e32 v55, 0xbf167918, v12
	v_fmac_f32_e32 v49, 0x3f167918, v12
	v_add_f32_e32 v12, v8, v54
	v_add_f32_e32 v3, v3, v11
	;; [unrolled: 1-line block ×3, first 2 shown]
	v_fma_f32 v5, -0.5, v5, v13
	v_sub_f32_e32 v11, v56, v11
	v_fmac_f32_e32 v9, 0x3e9e377a, v14
	v_fmac_f32_e32 v6, 0x3e9e377a, v14
	v_add_f32_e32 v14, v13, v8
	v_sub_f32_e32 v10, v62, v10
	v_fmac_f32_e32 v13, -0.5, v12
	v_fmac_f32_e32 v55, 0x3e9e377a, v15
	v_fmac_f32_e32 v49, 0x3e9e377a, v15
	v_fmamk_f32 v15, v11, 0x3f737871, v5
	v_sub_f32_e32 v12, v8, v4
	v_sub_f32_e32 v56, v54, v0
	v_fmamk_f32 v57, v10, 0xbf737871, v13
	v_sub_f32_e32 v8, v4, v8
	v_sub_f32_e32 v62, v0, v54
	v_fmac_f32_e32 v13, 0x3f737871, v10
	v_fmac_f32_e32 v5, 0xbf737871, v11
	v_fmac_f32_e32 v15, 0x3f167918, v10
	v_add_f32_e32 v12, v12, v56
	v_fmac_f32_e32 v57, 0x3f167918, v11
	v_add_f32_e32 v8, v8, v62
	v_fmac_f32_e32 v13, 0xbf167918, v11
	v_fmac_f32_e32 v5, 0xbf167918, v10
	v_add_f32_e32 v4, v14, v4
	v_fmac_f32_e32 v15, 0x3e9e377a, v12
	v_fmac_f32_e32 v57, 0x3e9e377a, v8
	;; [unrolled: 1-line block ×4, first 2 shown]
	v_add_f32_e32 v0, v4, v0
	v_mul_f32_e32 v4, 0xbf167918, v15
	v_mul_f32_e32 v94, 0x3f4f1bbd, v15
	;; [unrolled: 1-line block ×8, first 2 shown]
	v_add_f32_e32 v92, v0, v54
	v_fmac_f32_e32 v4, 0x3f4f1bbd, v9
	v_fmac_f32_e32 v94, 0x3f167918, v9
	;; [unrolled: 1-line block ×8, first 2 shown]
	v_add_f32_e32 v8, v1, v3
	v_add_f32_e32 v10, v2, v4
	;; [unrolled: 1-line block ×10, first 2 shown]
	v_sub_f32_e32 v56, v1, v3
	v_sub_f32_e32 v57, v91, v92
	;; [unrolled: 1-line block ×10, first 2 shown]
	ds_write2_b64 v104, v[8:9], v[10:11] offset1:6
	ds_write2_b64 v104, v[12:13], v[14:15] offset0:12 offset1:18
	ds_write2_b64 v104, v[54:55], v[56:57] offset0:24 offset1:30
	;; [unrolled: 1-line block ×4, first 2 shown]
	v_add_nc_u32_e32 v12, 0xa00, v99
	v_add_nc_u32_e32 v13, 0x1600, v99
	s_waitcnt lgkmcnt(0)
	s_barrier
	buffer_gl0_inv
	ds_read2_b64 v[8:11], v99 offset1:180
	ds_read2_b64 v[54:57], v12 offset0:40 offset1:220
	ds_read2_b64 v[12:15], v13 offset0:16 offset1:196
	s_and_saveexec_b32 s1, vcc_lo
	s_cbranch_execz .LBB0_23
; %bb.22:
	v_add_nc_u32_e32 v0, 0x200, v99
	v_add_nc_u32_e32 v4, 0xe00, v99
	ds_read2_b64 v[0:3], v0 offset0:44 offset1:224
	ds_read2_b64 v[4:7], v4 offset0:20 offset1:200
	;; [unrolled: 1-line block ×3, first 2 shown]
.LBB0_23:
	s_or_b32 exec_lo, exec_lo, s1
	s_waitcnt lgkmcnt(2)
	v_mul_f32_e32 v48, v21, v11
	v_mul_f32_e32 v21, v21, v10
	s_waitcnt lgkmcnt(1)
	v_mul_f32_e32 v49, v23, v55
	v_mul_f32_e32 v23, v23, v54
	s_waitcnt lgkmcnt(0)
	v_fmac_f32_e32 v48, v20, v10
	v_fma_f32 v10, v20, v11, -v21
	v_mul_f32_e32 v11, v33, v57
	v_fmac_f32_e32 v49, v22, v54
	v_mul_f32_e32 v20, v33, v56
	v_fma_f32 v21, v22, v55, -v23
	v_mul_f32_e32 v22, v35, v13
	v_mul_f32_e32 v23, v35, v12
	v_fmac_f32_e32 v11, v32, v56
	v_fma_f32 v20, v32, v57, -v20
	v_mul_f32_e32 v32, v90, v15
	v_fmac_f32_e32 v22, v34, v12
	v_fma_f32 v13, v34, v13, -v23
	v_mul_f32_e32 v34, v25, v3
	v_mul_f32_e32 v12, v90, v14
	v_fmac_f32_e32 v32, v89, v14
	v_mul_f32_e32 v14, v25, v2
	v_mul_f32_e32 v35, v27, v5
	v_fmac_f32_e32 v34, v24, v2
	v_mul_f32_e32 v2, v27, v4
	v_mul_f32_e32 v55, v17, v7
	v_fma_f32 v54, v24, v3, -v14
	v_fmac_f32_e32 v35, v26, v4
	v_mul_f32_e32 v3, v17, v6
	v_fma_f32 v4, v26, v5, -v2
	v_mul_f32_e32 v2, v19, v50
	v_fmac_f32_e32 v55, v16, v6
	v_fma_f32 v12, v89, v15, -v12
	v_fma_f32 v6, v16, v7, -v3
	v_mul_f32_e32 v5, v19, v51
	v_fma_f32 v16, v18, v51, -v2
	v_add_f32_e32 v2, v49, v22
	v_mul_f32_e32 v3, v88, v52
	v_add_f32_e32 v14, v8, v49
	v_fmac_f32_e32 v5, v18, v50
	v_mul_f32_e32 v7, v88, v53
	v_fma_f32 v2, -0.5, v2, v8
	v_sub_f32_e32 v8, v21, v13
	v_fma_f32 v17, v87, v53, -v3
	v_add_f32_e32 v3, v21, v13
	v_add_f32_e32 v18, v14, v22
	;; [unrolled: 1-line block ×3, first 2 shown]
	v_fmamk_f32 v19, v8, 0xbf5db3d7, v2
	v_fmac_f32_e32 v2, 0x3f5db3d7, v8
	v_add_f32_e32 v8, v20, v12
	v_fma_f32 v3, -0.5, v3, v9
	v_sub_f32_e32 v9, v49, v22
	v_add_f32_e32 v21, v14, v13
	v_add_f32_e32 v13, v11, v32
	;; [unrolled: 1-line block ×3, first 2 shown]
	v_fmac_f32_e32 v10, -0.5, v8
	v_sub_f32_e32 v8, v11, v32
	v_fmamk_f32 v27, v9, 0x3f5db3d7, v3
	v_add_f32_e32 v11, v48, v11
	v_fmac_f32_e32 v48, -0.5, v13
	v_sub_f32_e32 v13, v20, v12
	v_fmac_f32_e32 v3, 0xbf5db3d7, v9
	v_fmamk_f32 v9, v8, 0x3f5db3d7, v10
	v_fmac_f32_e32 v10, 0xbf5db3d7, v8
	v_add_f32_e32 v8, v11, v32
	v_fmamk_f32 v11, v13, 0xbf5db3d7, v48
	v_fmac_f32_e32 v48, 0x3f5db3d7, v13
	v_mul_f32_e32 v20, 0xbf5db3d7, v9
	v_mul_f32_e32 v25, 0xbf5db3d7, v10
	v_mul_f32_e32 v9, 0.5, v9
	v_mul_f32_e32 v10, -0.5, v10
	v_add_f32_e32 v33, v14, v12
	v_add_f32_e32 v12, v18, v8
	v_fmac_f32_e32 v25, -0.5, v48
	v_fmac_f32_e32 v9, 0x3f5db3d7, v11
	v_fmac_f32_e32 v10, 0x3f5db3d7, v48
	v_add_f32_e32 v13, v21, v33
	v_sub_f32_e32 v24, v18, v8
	v_add_f32_e32 v22, v2, v25
	v_sub_f32_e32 v32, v2, v25
	v_add_f32_e32 v2, v35, v5
	v_add_f32_e32 v15, v27, v9
	;; [unrolled: 1-line block ×3, first 2 shown]
	v_sub_f32_e32 v25, v21, v33
	v_sub_f32_e32 v27, v27, v9
	v_add_f32_e32 v8, v0, v35
	v_sub_f32_e32 v33, v3, v10
	v_add_f32_e32 v3, v4, v16
	v_fmac_f32_e32 v0, -0.5, v2
	v_sub_f32_e32 v9, v4, v16
	v_fmac_f32_e32 v7, v87, v52
	v_add_f32_e32 v4, v1, v4
	v_fmac_f32_e32 v1, -0.5, v3
	v_fmac_f32_e32 v20, 0.5, v11
	v_fmamk_f32 v3, v9, 0xbf5db3d7, v0
	v_fmac_f32_e32 v0, 0x3f5db3d7, v9
	v_add_f32_e32 v9, v6, v17
	v_add_f32_e32 v4, v4, v16
	v_add_f32_e32 v10, v55, v7
	v_add_f32_e32 v16, v54, v6
	v_add_f32_e32 v2, v8, v5
	v_fmac_f32_e32 v54, -0.5, v9
	v_sub_f32_e32 v9, v55, v7
	v_sub_f32_e32 v8, v35, v5
	v_add_f32_e32 v11, v34, v55
	v_fmac_f32_e32 v34, -0.5, v10
	v_sub_f32_e32 v10, v6, v17
	v_fmamk_f32 v18, v9, 0x3f5db3d7, v54
	v_fmac_f32_e32 v54, 0xbf5db3d7, v9
	v_add_f32_e32 v14, v19, v20
	v_sub_f32_e32 v26, v19, v20
	v_fmamk_f32 v5, v8, 0x3f5db3d7, v1
	v_fmac_f32_e32 v1, 0xbf5db3d7, v8
	v_add_f32_e32 v6, v11, v7
	v_fmamk_f32 v19, v10, 0xbf5db3d7, v34
	v_fmac_f32_e32 v34, 0x3f5db3d7, v10
	v_mul_f32_e32 v7, 0xbf5db3d7, v18
	v_mul_f32_e32 v8, 0xbf5db3d7, v54
	v_mul_f32_e32 v9, 0.5, v18
	v_mul_f32_e32 v11, -0.5, v54
	v_add_f32_e32 v10, v16, v17
	v_fmac_f32_e32 v7, 0.5, v19
	v_fmac_f32_e32 v8, -0.5, v34
	v_fmac_f32_e32 v9, 0x3f5db3d7, v19
	v_fmac_f32_e32 v11, 0x3f5db3d7, v34
	v_sub_f32_e32 v16, v2, v6
	v_sub_f32_e32 v18, v3, v7
	;; [unrolled: 1-line block ×6, first 2 shown]
	v_add_nc_u32_e32 v34, 0x400, v108
	s_barrier
	buffer_gl0_inv
	ds_write2_b64 v108, v[12:13], v[14:15] offset1:60
	ds_write2_b64 v108, v[22:23], v[24:25] offset0:120 offset1:180
	ds_write2_b64 v34, v[26:27], v[32:33] offset0:112 offset1:172
	s_and_saveexec_b32 s1, vcc_lo
	s_cbranch_execz .LBB0_25
; %bb.24:
	v_mov_b32_e32 v12, 0x168
	v_add_f32_e32 v1, v1, v11
	v_add_f32_e32 v5, v5, v9
	;; [unrolled: 1-line block ×4, first 2 shown]
	v_mul_u32_u24_sdwa v12, v102, v12 dst_sel:DWORD dst_unused:UNUSED_PAD src0_sel:WORD_0 src1_sel:DWORD
	v_add_f32_e32 v9, v2, v6
	v_add_f32_e32 v0, v0, v8
	v_add_nc_u32_e32 v12, v12, v103
	v_lshl_add_u32 v11, v12, 3, v101
	v_add_nc_u32_e32 v2, 0x400, v11
	ds_write2_b64 v11, v[9:10], v[4:5] offset1:60
	ds_write2_b64 v11, v[0:1], v[16:17] offset0:120 offset1:180
	ds_write2_b64 v2, v[18:19], v[20:21] offset0:112 offset1:172
.LBB0_25:
	s_or_b32 exec_lo, exec_lo, s1
	v_add_nc_u32_e32 v24, 0x400, v99
	v_add_nc_u32_e32 v8, 0x1400, v99
	;; [unrolled: 1-line block ×3, first 2 shown]
	s_waitcnt lgkmcnt(0)
	s_barrier
	buffer_gl0_inv
	ds_read2_b64 v[4:7], v99 offset1:108
	ds_read2_b64 v[0:3], v24 offset0:88 offset1:232
	ds_read2_b64 v[12:15], v8 offset0:80 offset1:188
	;; [unrolled: 1-line block ×3, first 2 shown]
	ds_read_b64 v[22:23], v99 offset:7488
	v_add_nc_u32_e32 v25, 0x6c0, v107
	s_and_saveexec_b32 s1, s0
	s_cbranch_execz .LBB0_27
; %bb.26:
	ds_read_b64 v[16:17], v99 offset:2592
	ds_read_b64 v[18:19], v99 offset:5472
	;; [unrolled: 1-line block ×3, first 2 shown]
.LBB0_27:
	s_or_b32 exec_lo, exec_lo, s1
	s_waitcnt lgkmcnt(3)
	v_mul_f32_e32 v27, v45, v2
	v_mul_f32_e32 v26, v45, v3
	s_waitcnt lgkmcnt(2)
	v_mul_f32_e32 v32, v47, v13
	v_mul_f32_e32 v33, v47, v12
	s_waitcnt lgkmcnt(1)
	v_mul_f32_e32 v34, v41, v11
	v_fma_f32 v3, v44, v3, -v27
	v_mul_f32_e32 v27, v37, v9
	v_fmac_f32_e32 v26, v44, v2
	v_fmac_f32_e32 v32, v46, v12
	v_mul_f32_e32 v2, v37, v8
	v_fma_f32 v12, v46, v13, -v33
	v_mul_f32_e32 v13, v39, v15
	v_fmac_f32_e32 v27, v36, v8
	v_mul_f32_e32 v8, v39, v14
	v_fma_f32 v33, v36, v9, -v2
	v_mul_f32_e32 v2, v41, v10
	v_fmac_f32_e32 v13, v38, v14
	v_add_f32_e32 v9, v4, v26
	v_fma_f32 v14, v38, v15, -v8
	s_waitcnt lgkmcnt(0)
	v_mul_f32_e32 v8, v43, v22
	v_mul_f32_e32 v15, v43, v23
	v_fma_f32 v35, v40, v11, -v2
	v_add_f32_e32 v2, v26, v32
	v_fmac_f32_e32 v34, v40, v10
	v_fma_f32 v23, v42, v23, -v8
	v_add_f32_e32 v8, v3, v12
	v_sub_f32_e32 v10, v3, v12
	v_fma_f32 v2, -0.5, v2, v4
	v_add_f32_e32 v4, v9, v32
	v_add_f32_e32 v9, v5, v3
	v_fma_f32 v3, -0.5, v8, v5
	v_sub_f32_e32 v11, v26, v32
	v_fmac_f32_e32 v15, v42, v22
	v_fmamk_f32 v8, v10, 0xbf5db3d7, v2
	v_fmac_f32_e32 v2, 0x3f5db3d7, v10
	v_add_f32_e32 v5, v9, v12
	v_add_f32_e32 v10, v27, v13
	v_fmamk_f32 v9, v11, 0x3f5db3d7, v3
	v_fmac_f32_e32 v3, 0xbf5db3d7, v11
	v_add_f32_e32 v11, v33, v14
	v_add_f32_e32 v26, v7, v33
	;; [unrolled: 1-line block ×3, first 2 shown]
	v_fma_f32 v6, -0.5, v10, v6
	v_sub_f32_e32 v22, v33, v14
	v_fmac_f32_e32 v7, -0.5, v11
	v_sub_f32_e32 v27, v27, v13
	v_add_f32_e32 v11, v26, v14
	v_add_f32_e32 v14, v34, v15
	;; [unrolled: 1-line block ×4, first 2 shown]
	v_fmamk_f32 v12, v22, 0xbf5db3d7, v6
	v_fmac_f32_e32 v6, 0x3f5db3d7, v22
	v_fmamk_f32 v13, v27, 0x3f5db3d7, v7
	v_add_f32_e32 v22, v0, v34
	v_fmac_f32_e32 v7, 0xbf5db3d7, v27
	v_fma_f32 v0, -0.5, v14, v0
	v_sub_f32_e32 v27, v35, v23
	v_add_f32_e32 v32, v1, v35
	v_fmac_f32_e32 v1, -0.5, v26
	v_sub_f32_e32 v26, v34, v15
	v_add_f32_e32 v14, v22, v15
	v_fmamk_f32 v22, v27, 0xbf5db3d7, v0
	v_fmac_f32_e32 v0, 0x3f5db3d7, v27
	v_add_nc_u32_e32 v27, 0xea0, v99
	v_add_f32_e32 v15, v32, v23
	v_fmamk_f32 v23, v26, 0x3f5db3d7, v1
	v_fmac_f32_e32 v1, 0xbf5db3d7, v26
	ds_write2_b64 v99, v[4:5], v[10:11] offset1:108
	ds_write2_b64 v27, v[12:13], v[2:3] offset1:252
	ds_write_b64 v99, v[6:7] offset:6624
	ds_write2_b64 v24, v[14:15], v[8:9] offset0:88 offset1:232
	ds_write_b64 v25, v[22:23] offset:2880
	ds_write_b64 v25, v[0:1] offset:5760
	s_and_saveexec_b32 s1, s0
	s_cbranch_execz .LBB0_29
; %bb.28:
	v_mul_f32_e32 v0, v29, v18
	v_mul_f32_e32 v1, v31, v20
	;; [unrolled: 1-line block ×4, first 2 shown]
	v_fma_f32 v0, v28, v19, -v0
	v_fma_f32 v3, v30, v21, -v1
	v_fmac_f32_e32 v2, v28, v18
	v_fmac_f32_e32 v4, v30, v20
	v_add_f32_e32 v7, v17, v0
	v_add_f32_e32 v1, v0, v3
	v_sub_f32_e32 v8, v0, v3
	v_add_f32_e32 v5, v2, v4
	v_sub_f32_e32 v6, v2, v4
	v_add_f32_e32 v2, v16, v2
	v_fma_f32 v1, -0.5, v1, v17
	v_add_f32_e32 v3, v7, v3
	v_fma_f32 v0, -0.5, v5, v16
	v_add_f32_e32 v2, v2, v4
	v_fmamk_f32 v5, v6, 0xbf5db3d7, v1
	v_fmac_f32_e32 v1, 0x3f5db3d7, v6
	v_fmamk_f32 v4, v8, 0x3f5db3d7, v0
	v_fmac_f32_e32 v0, 0xbf5db3d7, v8
	ds_write_b64 v99, v[2:3] offset:2592
	ds_write_b64 v99, v[0:1] offset:5472
	;; [unrolled: 1-line block ×3, first 2 shown]
.LBB0_29:
	s_or_b32 exec_lo, exec_lo, s1
	s_waitcnt lgkmcnt(0)
	s_barrier
	buffer_gl0_inv
	ds_read2_b64 v[0:3], v99 offset1:180
	v_add_nc_u32_e32 v4, 0xa00, v99
	v_mad_u64_u32 v[12:13], null, s10, v72, 0
	v_mad_u64_u32 v[14:15], null, s8, v100, 0
	v_add_nc_u32_e32 v8, 0x1600, v99
	ds_read2_b64 v[4:7], v4 offset0:40 offset1:220
	s_mov_b32 s2, 0xc901e574
	s_mov_b32 s3, 0x3f4e573a
	s_mul_hi_u32 s1, s8, 0xb4
	ds_read2_b64 v[8:11], v8 offset0:16 offset1:196
	v_mad_u64_u32 v[16:17], null, s11, v72, v[13:14]
	v_mad_u64_u32 v[17:18], null, s9, v100, v[15:16]
	s_waitcnt lgkmcnt(2)
	v_mul_f32_e32 v19, v74, v1
	v_mul_f32_e32 v13, v74, v0
	;; [unrolled: 1-line block ×4, first 2 shown]
	v_fmac_f32_e32 v19, v73, v0
	v_fma_f32 v20, v73, v1, -v13
	v_mov_b32_e32 v13, v16
	v_fmac_f32_e32 v15, v75, v2
	v_fma_f32 v16, v75, v3, -v18
	v_cvt_f64_f32_e32 v[0:1], v19
	v_cvt_f64_f32_e32 v[2:3], v20
	s_waitcnt lgkmcnt(1)
	v_mul_f32_e32 v22, v84, v5
	v_mul_f32_e32 v23, v84, v4
	;; [unrolled: 1-line block ×3, first 2 shown]
	v_cvt_f64_f32_e32 v[18:19], v15
	v_cvt_f64_f32_e32 v[20:21], v16
	v_fmac_f32_e32 v22, v83, v4
	v_fma_f32 v15, v83, v5, -v23
	s_waitcnt lgkmcnt(0)
	v_mul_f32_e32 v16, v78, v9
	v_fmac_f32_e32 v24, v81, v6
	v_mul_f32_e32 v6, v82, v6
	v_cvt_f64_f32_e32 v[4:5], v22
	v_cvt_f64_f32_e32 v[22:23], v15
	v_fmac_f32_e32 v16, v77, v8
	v_mul_f32_e32 v8, v78, v8
	v_mul_f32_e32 v15, v80, v11
	;; [unrolled: 1-line block ×3, first 2 shown]
	v_fma_f32 v6, v81, v7, -v6
	v_cvt_f64_f32_e32 v[26:27], v16
	v_fma_f32 v8, v77, v9, -v8
	v_fmac_f32_e32 v15, v79, v10
	v_fma_f32 v16, v79, v11, -v28
	v_cvt_f64_f32_e32 v[6:7], v6
	v_mul_f64 v[0:1], v[0:1], s[2:3]
	v_mul_f64 v[2:3], v[2:3], s[2:3]
	v_cvt_f64_f32_e32 v[8:9], v8
	v_cvt_f64_f32_e32 v[10:11], v15
	;; [unrolled: 1-line block ×4, first 2 shown]
	v_lshlrev_b64 v[12:13], 3, v[12:13]
	v_mov_b32_e32 v15, v17
	v_mul_f64 v[16:17], v[18:19], s[2:3]
	v_mul_f64 v[18:19], v[20:21], s[2:3]
	;; [unrolled: 1-line block ×3, first 2 shown]
	v_add_co_u32 v30, s0, s6, v12
	v_add_co_ci_u32_e64 v31, s0, s7, v13, s0
	v_mul_f64 v[12:13], v[22:23], s[2:3]
	v_lshlrev_b64 v[14:15], 3, v[14:15]
	v_mul_f64 v[22:23], v[26:27], s[2:3]
	v_mul_f64 v[6:7], v[6:7], s[2:3]
	v_cvt_f32_f64_e32 v0, v[0:1]
	v_cvt_f32_f64_e32 v1, v[2:3]
	v_mul_f64 v[2:3], v[8:9], s[2:3]
	v_mul_f64 v[8:9], v[10:11], s[2:3]
	;; [unrolled: 1-line block ×4, first 2 shown]
	v_add_co_u32 v14, s0, v30, v14
	v_add_co_ci_u32_e64 v15, s0, v31, v15, s0
	s_mul_i32 s0, s9, 0xb4
	v_cvt_f32_f64_e32 v16, v[16:17]
	s_add_i32 s1, s1, s0
	s_mul_i32 s0, s8, 0xb4
	v_cvt_f32_f64_e32 v17, v[18:19]
	s_lshl_b64 s[4:5], s[0:1], 3
	v_cvt_f32_f64_e32 v4, v[4:5]
	v_add_co_u32 v18, s0, v14, s4
	v_add_co_ci_u32_e64 v19, s0, s5, v15, s0
	v_cvt_f32_f64_e32 v5, v[12:13]
	v_cvt_f32_f64_e32 v13, v[6:7]
	;; [unrolled: 1-line block ×5, first 2 shown]
	v_add_co_u32 v8, s0, v18, s4
	v_cvt_f32_f64_e32 v12, v[20:21]
	v_add_co_ci_u32_e64 v9, s0, s5, v19, s0
	v_cvt_f32_f64_e32 v3, v[10:11]
	v_add_co_u32 v10, s0, v8, s4
	v_add_co_ci_u32_e64 v11, s0, s5, v9, s0
	global_store_dwordx2 v[14:15], v[0:1], off
	v_add_co_u32 v20, s0, v10, s4
	v_add_co_ci_u32_e64 v21, s0, s5, v11, s0
	v_add_co_u32 v0, s0, v20, s4
	v_add_co_ci_u32_e64 v1, s0, s5, v21, s0
	global_store_dwordx2 v[18:19], v[16:17], off
	global_store_dwordx2 v[8:9], v[4:5], off
	;; [unrolled: 1-line block ×5, first 2 shown]
	s_and_b32 exec_lo, exec_lo, vcc_lo
	s_cbranch_execz .LBB0_31
; %bb.30:
	s_clause 0x5
	global_load_dwordx2 v[14:15], v[70:71], off offset:864
	global_load_dwordx2 v[16:17], v[68:69], off offset:256
	;; [unrolled: 1-line block ×6, first 2 shown]
	v_add_nc_u32_e32 v2, 0x200, v99
	v_add_nc_u32_e32 v6, 0xe00, v99
	;; [unrolled: 1-line block ×3, first 2 shown]
	v_mad_u64_u32 v[0:1], null, 0xffffe740, s8, v[0:1]
	ds_read2_b64 v[2:5], v2 offset0:44 offset1:224
	ds_read2_b64 v[6:9], v6 offset0:20 offset1:200
	;; [unrolled: 1-line block ×3, first 2 shown]
	s_mul_i32 s0, s9, 0xffffe740
	s_sub_i32 s0, s0, s8
	v_add_nc_u32_e32 v1, s0, v1
	s_waitcnt vmcnt(5) lgkmcnt(2)
	v_mul_f32_e32 v26, v3, v15
	v_mul_f32_e32 v15, v2, v15
	s_waitcnt vmcnt(4)
	v_mul_f32_e32 v27, v5, v17
	v_mul_f32_e32 v17, v4, v17
	s_waitcnt vmcnt(3) lgkmcnt(1)
	v_mul_f32_e32 v28, v7, v19
	v_mul_f32_e32 v19, v6, v19
	s_waitcnt vmcnt(2)
	v_mul_f32_e32 v29, v9, v21
	v_mul_f32_e32 v21, v8, v21
	;; [unrolled: 6-line block ×3, first 2 shown]
	v_fmac_f32_e32 v26, v2, v14
	v_fma_f32 v14, v14, v3, -v15
	v_fmac_f32_e32 v27, v4, v16
	v_fma_f32 v15, v16, v5, -v17
	;; [unrolled: 2-line block ×6, first 2 shown]
	v_cvt_f64_f32_e32 v[2:3], v26
	v_cvt_f64_f32_e32 v[4:5], v14
	;; [unrolled: 1-line block ×12, first 2 shown]
	v_add_co_u32 v26, vcc_lo, v0, s4
	v_add_co_ci_u32_e32 v27, vcc_lo, s5, v1, vcc_lo
	v_mul_f64 v[2:3], v[2:3], s[2:3]
	v_mul_f64 v[4:5], v[4:5], s[2:3]
	;; [unrolled: 1-line block ×12, first 2 shown]
	v_cvt_f32_f64_e32 v2, v[2:3]
	v_cvt_f32_f64_e32 v3, v[4:5]
	;; [unrolled: 1-line block ×12, first 2 shown]
	v_add_co_u32 v14, vcc_lo, v26, s4
	v_add_co_ci_u32_e32 v15, vcc_lo, s5, v27, vcc_lo
	v_add_co_u32 v16, vcc_lo, v14, s4
	v_add_co_ci_u32_e32 v17, vcc_lo, s5, v15, vcc_lo
	v_add_co_u32 v18, vcc_lo, v16, s4
	v_add_co_ci_u32_e32 v19, vcc_lo, s5, v17, vcc_lo
	v_add_co_u32 v20, vcc_lo, v18, s4
	v_add_co_ci_u32_e32 v21, vcc_lo, s5, v19, vcc_lo
	global_store_dwordx2 v[0:1], v[2:3], off
	global_store_dwordx2 v[26:27], v[4:5], off
	;; [unrolled: 1-line block ×6, first 2 shown]
.LBB0_31:
	s_endpgm
	.section	.rodata,"a",@progbits
	.p2align	6, 0x0
	.amdhsa_kernel bluestein_single_back_len1080_dim1_sp_op_CI_CI
		.amdhsa_group_segment_fixed_size 17280
		.amdhsa_private_segment_fixed_size 0
		.amdhsa_kernarg_size 104
		.amdhsa_user_sgpr_count 6
		.amdhsa_user_sgpr_private_segment_buffer 1
		.amdhsa_user_sgpr_dispatch_ptr 0
		.amdhsa_user_sgpr_queue_ptr 0
		.amdhsa_user_sgpr_kernarg_segment_ptr 1
		.amdhsa_user_sgpr_dispatch_id 0
		.amdhsa_user_sgpr_flat_scratch_init 0
		.amdhsa_user_sgpr_private_segment_size 0
		.amdhsa_wavefront_size32 1
		.amdhsa_uses_dynamic_stack 0
		.amdhsa_system_sgpr_private_segment_wavefront_offset 0
		.amdhsa_system_sgpr_workgroup_id_x 1
		.amdhsa_system_sgpr_workgroup_id_y 0
		.amdhsa_system_sgpr_workgroup_id_z 0
		.amdhsa_system_sgpr_workgroup_info 0
		.amdhsa_system_vgpr_workitem_id 0
		.amdhsa_next_free_vgpr 132
		.amdhsa_next_free_sgpr 16
		.amdhsa_reserve_vcc 1
		.amdhsa_reserve_flat_scratch 0
		.amdhsa_float_round_mode_32 0
		.amdhsa_float_round_mode_16_64 0
		.amdhsa_float_denorm_mode_32 3
		.amdhsa_float_denorm_mode_16_64 3
		.amdhsa_dx10_clamp 1
		.amdhsa_ieee_mode 1
		.amdhsa_fp16_overflow 0
		.amdhsa_workgroup_processor_mode 1
		.amdhsa_memory_ordered 1
		.amdhsa_forward_progress 0
		.amdhsa_shared_vgpr_count 0
		.amdhsa_exception_fp_ieee_invalid_op 0
		.amdhsa_exception_fp_denorm_src 0
		.amdhsa_exception_fp_ieee_div_zero 0
		.amdhsa_exception_fp_ieee_overflow 0
		.amdhsa_exception_fp_ieee_underflow 0
		.amdhsa_exception_fp_ieee_inexact 0
		.amdhsa_exception_int_div_zero 0
	.end_amdhsa_kernel
	.text
.Lfunc_end0:
	.size	bluestein_single_back_len1080_dim1_sp_op_CI_CI, .Lfunc_end0-bluestein_single_back_len1080_dim1_sp_op_CI_CI
                                        ; -- End function
	.section	.AMDGPU.csdata,"",@progbits
; Kernel info:
; codeLenInByte = 10752
; NumSgprs: 18
; NumVgprs: 132
; ScratchSize: 0
; MemoryBound: 0
; FloatMode: 240
; IeeeMode: 1
; LDSByteSize: 17280 bytes/workgroup (compile time only)
; SGPRBlocks: 2
; VGPRBlocks: 16
; NumSGPRsForWavesPerEU: 18
; NumVGPRsForWavesPerEU: 132
; Occupancy: 7
; WaveLimiterHint : 1
; COMPUTE_PGM_RSRC2:SCRATCH_EN: 0
; COMPUTE_PGM_RSRC2:USER_SGPR: 6
; COMPUTE_PGM_RSRC2:TRAP_HANDLER: 0
; COMPUTE_PGM_RSRC2:TGID_X_EN: 1
; COMPUTE_PGM_RSRC2:TGID_Y_EN: 0
; COMPUTE_PGM_RSRC2:TGID_Z_EN: 0
; COMPUTE_PGM_RSRC2:TIDIG_COMP_CNT: 0
	.text
	.p2alignl 6, 3214868480
	.fill 48, 4, 3214868480
	.type	__hip_cuid_41cb31f1812fbc39,@object ; @__hip_cuid_41cb31f1812fbc39
	.section	.bss,"aw",@nobits
	.globl	__hip_cuid_41cb31f1812fbc39
__hip_cuid_41cb31f1812fbc39:
	.byte	0                               ; 0x0
	.size	__hip_cuid_41cb31f1812fbc39, 1

	.ident	"AMD clang version 19.0.0git (https://github.com/RadeonOpenCompute/llvm-project roc-6.4.0 25133 c7fe45cf4b819c5991fe208aaa96edf142730f1d)"
	.section	".note.GNU-stack","",@progbits
	.addrsig
	.addrsig_sym __hip_cuid_41cb31f1812fbc39
	.amdgpu_metadata
---
amdhsa.kernels:
  - .args:
      - .actual_access:  read_only
        .address_space:  global
        .offset:         0
        .size:           8
        .value_kind:     global_buffer
      - .actual_access:  read_only
        .address_space:  global
        .offset:         8
        .size:           8
        .value_kind:     global_buffer
      - .actual_access:  read_only
        .address_space:  global
        .offset:         16
        .size:           8
        .value_kind:     global_buffer
      - .actual_access:  read_only
        .address_space:  global
        .offset:         24
        .size:           8
        .value_kind:     global_buffer
      - .actual_access:  read_only
        .address_space:  global
        .offset:         32
        .size:           8
        .value_kind:     global_buffer
      - .offset:         40
        .size:           8
        .value_kind:     by_value
      - .address_space:  global
        .offset:         48
        .size:           8
        .value_kind:     global_buffer
      - .address_space:  global
        .offset:         56
        .size:           8
        .value_kind:     global_buffer
      - .address_space:  global
        .offset:         64
        .size:           8
        .value_kind:     global_buffer
      - .address_space:  global
        .offset:         72
        .size:           8
        .value_kind:     global_buffer
      - .offset:         80
        .size:           4
        .value_kind:     by_value
      - .address_space:  global
        .offset:         88
        .size:           8
        .value_kind:     global_buffer
      - .address_space:  global
        .offset:         96
        .size:           8
        .value_kind:     global_buffer
    .group_segment_fixed_size: 17280
    .kernarg_segment_align: 8
    .kernarg_segment_size: 104
    .language:       OpenCL C
    .language_version:
      - 2
      - 0
    .max_flat_workgroup_size: 216
    .name:           bluestein_single_back_len1080_dim1_sp_op_CI_CI
    .private_segment_fixed_size: 0
    .sgpr_count:     18
    .sgpr_spill_count: 0
    .symbol:         bluestein_single_back_len1080_dim1_sp_op_CI_CI.kd
    .uniform_work_group_size: 1
    .uses_dynamic_stack: false
    .vgpr_count:     132
    .vgpr_spill_count: 0
    .wavefront_size: 32
    .workgroup_processor_mode: 1
amdhsa.target:   amdgcn-amd-amdhsa--gfx1030
amdhsa.version:
  - 1
  - 2
...

	.end_amdgpu_metadata
